;; amdgpu-corpus repo=ROCm/rocFFT kind=compiled arch=gfx906 opt=O3
	.text
	.amdgcn_target "amdgcn-amd-amdhsa--gfx906"
	.amdhsa_code_object_version 6
	.protected	fft_rtc_back_len49_factors_7_7_wgs_196_tpt_7_sp_op_CI_CI_sbrc_xy_z_diag ; -- Begin function fft_rtc_back_len49_factors_7_7_wgs_196_tpt_7_sp_op_CI_CI_sbrc_xy_z_diag
	.globl	fft_rtc_back_len49_factors_7_7_wgs_196_tpt_7_sp_op_CI_CI_sbrc_xy_z_diag
	.p2align	8
	.type	fft_rtc_back_len49_factors_7_7_wgs_196_tpt_7_sp_op_CI_CI_sbrc_xy_z_diag,@function
fft_rtc_back_len49_factors_7_7_wgs_196_tpt_7_sp_op_CI_CI_sbrc_xy_z_diag: ; @fft_rtc_back_len49_factors_7_7_wgs_196_tpt_7_sp_op_CI_CI_sbrc_xy_z_diag
; %bb.0:
	s_load_dwordx8 s[8:15], s[4:5], 0x0
	s_waitcnt lgkmcnt(0)
	s_load_dwordx4 s[0:3], s[12:13], 0x8
	s_nop 0
	s_load_dwordx2 s[12:13], s[4:5], 0x20
	s_load_dwordx4 s[16:19], s[4:5], 0x58
	s_load_dwordx4 s[20:23], s[14:15], 0x0
	s_load_dword s25, s[14:15], 0x10
	s_waitcnt lgkmcnt(0)
	s_add_i32 s1, s2, -1
	s_lshr_b32 s1, s1, 2
	s_mul_hi_u32 s1, s1, 0x24924925
	s_add_i32 s7, s1, 1
	s_mul_i32 s7, s7, s0
	v_cvt_f32_u32_e32 v1, s7
	s_sub_i32 s4, 0, s7
	s_load_dwordx4 s[0:3], s[12:13], 0x0
	s_waitcnt lgkmcnt(0)
	s_load_dword s3, s[12:13], 0x10
	v_rcp_iflag_f32_e32 v1, v1
	v_mul_f32_e32 v1, 0x4f7ffffe, v1
	v_cvt_u32_f32_e32 v1, v1
	v_readfirstlane_b32 s5, v1
	s_mul_i32 s4, s4, s5
	s_mul_hi_u32 s4, s5, s4
	s_add_i32 s5, s5, s4
	s_mul_hi_u32 s4, s6, s5
	s_mul_i32 s5, s4, s7
	s_sub_i32 s5, s6, s5
	s_add_i32 s23, s4, 1
	s_sub_i32 s24, s5, s7
	s_cmp_ge_u32 s5, s7
	s_cselect_b32 s4, s23, s4
	s_cselect_b32 s5, s24, s5
	s_add_i32 s23, s4, 1
	s_cmp_ge_u32 s5, s7
	s_cselect_b32 s23, s23, s4
	s_mul_i32 s4, s23, s7
	s_sub_i32 s4, s6, s4
	s_mul_hi_u32 s5, s4, 0x24924925
	s_sub_i32 s6, s4, s5
	s_lshr_b32 s6, s6, 1
	s_add_i32 s6, s6, s5
	s_lshr_b32 s5, s6, 2
	s_mul_i32 s6, s5, 7
	s_sub_i32 s4, s4, s6
	s_add_i32 s6, s5, s4
	s_mul_hi_u32 s5, s6, 0x5397829d
	s_lshr_b32 s24, s5, 4
	s_mul_i32 s24, s24, 49
	s_mul_i32 s4, s4, 28
	s_sub_i32 s24, s6, s24
	s_lshl_b64 s[26:27], s[10:11], 3
	s_mul_i32 s7, s4, s25
	s_mul_i32 s10, s1, s4
	s_mul_hi_u32 s11, s0, s4
	s_mul_i32 s6, s24, s22
	s_add_i32 s5, s11, s10
	s_add_i32 s10, s6, s7
	s_add_u32 s6, s14, s26
	s_addc_u32 s7, s15, s27
	s_load_dwordx2 s[14:15], s[6:7], 0x0
	v_mul_u32_u24_e32 v1, 0x53a, v0
	v_lshrrev_b32_e32 v31, 16, v1
	v_mul_lo_u16_e32 v1, 49, v31
	v_sub_u16_e32 v32, v0, v1
	s_waitcnt lgkmcnt(0)
	s_mul_i32 s6, s15, s23
	s_mul_hi_u32 s7, s14, s23
	s_add_i32 s15, s7, s6
	s_add_u32 s6, s12, s26
	v_mad_u64_u32 v[3:4], s[28:29], s20, v32, 0
	s_addc_u32 s7, s13, s27
	s_load_dwordx2 s[6:7], s[6:7], 0x0
	v_mov_b32_e32 v1, v4
	v_mad_u64_u32 v[1:2], s[12:13], s21, v32, v[1:2]
	s_mul_i32 s14, s14, s23
	s_waitcnt lgkmcnt(0)
	s_mul_i32 s7, s7, s23
	s_mul_hi_u32 s12, s6, s23
	s_add_i32 s7, s12, s7
	s_lshl_b64 s[12:13], s[14:15], 3
	s_mov_b32 s11, 0
	s_add_u32 s14, s16, s12
	v_mov_b32_e32 v4, v1
	v_mul_lo_u32 v1, s25, v31
	s_addc_u32 s15, s17, s13
	s_lshl_b64 s[12:13], s[10:11], 3
	s_add_u32 s10, s14, s12
	v_lshlrev_b64 v[3:4], 3, v[3:4]
	s_addc_u32 s12, s15, s13
	v_mov_b32_e32 v2, 0
	v_mov_b32_e32 v5, s12
	v_add_co_u32_e32 v17, vcc, s10, v3
	v_addc_co_u32_e32 v18, vcc, v5, v4, vcc
	v_lshlrev_b64 v[3:4], 3, v[1:2]
	s_lshl_b32 s10, s25, 2
	v_add_u32_e32 v1, s10, v1
	v_add_co_u32_e32 v3, vcc, v17, v3
	v_lshlrev_b64 v[5:6], 3, v[1:2]
	v_addc_co_u32_e32 v4, vcc, v18, v4, vcc
	v_add_u32_e32 v1, s10, v1
	v_add_co_u32_e32 v5, vcc, v17, v5
	v_lshlrev_b64 v[7:8], 3, v[1:2]
	v_addc_co_u32_e32 v6, vcc, v18, v6, vcc
	;; [unrolled: 4-line block ×6, first 2 shown]
	v_add_co_u32_e32 v15, vcc, v17, v15
	v_addc_co_u32_e32 v16, vcc, v18, v16, vcc
	global_load_dwordx2 v[17:18], v[3:4], off
	global_load_dwordx2 v[19:20], v[5:6], off
	;; [unrolled: 1-line block ×7, first 2 shown]
	v_mov_b32_e32 v1, 7
	v_mul_u32_u24_e32 v3, 0x2493, v0
	v_mul_lo_u16_sdwa v1, v3, v1 dst_sel:DWORD dst_unused:UNUSED_PAD src0_sel:WORD_1 src1_sel:DWORD
	v_add_u16_sdwa v3, v3, s4 dst_sel:DWORD dst_unused:UNUSED_PAD src0_sel:WORD_1 src1_sel:DWORD
	v_lshrrev_b16_e32 v7, 2, v3
	v_mul_u32_u24_e32 v7, 0x4925, v7
	v_lshrrev_b32_e32 v7, 17, v7
	v_mul_lo_u16_e32 v7, 28, v7
	v_sub_u16_e32 v3, v3, v7
	v_mul_u32_u24_e32 v4, 0x188, v31
	v_sub_u16_e32 v1, v0, v1
	v_lshlrev_b32_e32 v5, 3, v32
	v_mul_lo_u16_e32 v3, 49, v3
	v_lshlrev_b32_e32 v13, 3, v1
	v_add3_u32 v4, 0, v4, v5
	v_lshlrev_b32_e32 v14, 3, v3
	v_add_u32_e32 v5, 0xc00, v4
	v_add_u32_e32 v6, 0x1800, v4
	v_add3_u32 v31, 0, v13, v14
	s_mov_b32 s10, 0xbf5ff5aa
	s_mov_b32 s12, 0x3f3bfb3b
	;; [unrolled: 1-line block ×4, first 2 shown]
	s_mul_i32 s4, s0, s4
	s_mul_i32 s6, s6, s23
	s_waitcnt vmcnt(5)
	ds_write2_b64 v4, v[17:18], v[19:20] offset1:196
	s_waitcnt vmcnt(3)
	ds_write2_b64 v5, v[21:22], v[23:24] offset0:8 offset1:204
	s_waitcnt vmcnt(1)
	ds_write2_b64 v6, v[25:26], v[27:28] offset0:16 offset1:212
	s_waitcnt vmcnt(0)
	ds_write_b64 v4, v[29:30] offset:9408
	s_waitcnt lgkmcnt(0)
	s_barrier
	ds_read2_b64 v[3:6], v31 offset0:7 offset1:14
	ds_read2_b64 v[7:10], v31 offset0:35 offset1:42
	v_add3_u32 v23, 0, v14, v13
	s_waitcnt lgkmcnt(0)
	v_add_f32_e32 v15, v3, v9
	v_add_f32_e32 v16, v4, v10
	v_sub_f32_e32 v17, v3, v9
	v_sub_f32_e32 v18, v4, v10
	ds_read2_b64 v[9:12], v31 offset0:21 offset1:28
	ds_read_b64 v[3:4], v23
	v_add_f32_e32 v19, v5, v7
	v_add_f32_e32 v20, v6, v8
	v_sub_f32_e32 v5, v5, v7
	v_sub_f32_e32 v6, v6, v8
	s_waitcnt lgkmcnt(1)
	v_add_f32_e32 v21, v9, v11
	v_add_f32_e32 v22, v10, v12
	;; [unrolled: 1-line block ×6, first 2 shown]
	s_waitcnt lgkmcnt(0)
	v_add_f32_e32 v3, v7, v3
	v_add_f32_e32 v4, v8, v4
	v_sub_f32_e32 v9, v11, v9
	v_sub_f32_e32 v10, v12, v10
	v_mov_b32_e32 v13, v3
	v_mov_b32_e32 v14, v4
	v_fmac_f32_e32 v13, 0xbf955555, v7
	v_fmac_f32_e32 v14, 0xbf955555, v8
	v_sub_f32_e32 v11, v19, v15
	v_sub_f32_e32 v19, v21, v19
	;; [unrolled: 1-line block ×4, first 2 shown]
	v_add_f32_e32 v7, v9, v5
	v_sub_f32_e32 v8, v9, v5
	v_sub_f32_e32 v24, v5, v17
	v_add_f32_e32 v5, v10, v6
	v_sub_f32_e32 v25, v10, v6
	v_sub_f32_e32 v26, v6, v18
	;; [unrolled: 1-line block ×4, first 2 shown]
	v_add_f32_e32 v27, v7, v17
	v_add_f32_e32 v28, v5, v18
	v_mul_f32_e32 v29, 0x3f08b237, v8
	v_mul_f32_e32 v25, 0x3f08b237, v25
	;; [unrolled: 1-line block ×4, first 2 shown]
	v_sub_f32_e32 v17, v17, v9
	v_sub_f32_e32 v18, v18, v10
	v_mul_f32_e32 v15, 0x3f4a47b2, v15
	v_mul_f32_e32 v16, 0x3f4a47b2, v16
	;; [unrolled: 1-line block ×4, first 2 shown]
	v_fma_f32 v5, v11, s12, -v5
	v_fma_f32 v6, v12, s12, -v6
	;; [unrolled: 1-line block ×8, first 2 shown]
	v_fmac_f32_e32 v15, 0x3d64c772, v19
	v_fmac_f32_e32 v16, 0x3d64c772, v20
	;; [unrolled: 1-line block ×4, first 2 shown]
	v_add_f32_e32 v7, v5, v13
	v_add_f32_e32 v8, v6, v14
	v_fmac_f32_e32 v30, 0xbee1c552, v27
	v_fmac_f32_e32 v32, 0xbee1c552, v28
	v_add_f32_e32 v11, v11, v13
	v_add_f32_e32 v12, v12, v14
	v_fmac_f32_e32 v21, 0xbee1c552, v27
	v_fmac_f32_e32 v22, 0xbee1c552, v28
	;; [unrolled: 4-line block ×3, first 2 shown]
	v_mad_u32_u24 v17, v1, 48, v31
	v_mul_u32_u24_e32 v1, 6, v1
	v_sub_f32_e32 v5, v7, v32
	v_add_f32_e32 v6, v30, v8
	v_add_f32_e32 v7, v32, v7
	v_sub_f32_e32 v8, v8, v30
	v_add_f32_e32 v9, v22, v11
	v_sub_f32_e32 v10, v12, v21
	v_sub_f32_e32 v11, v11, v22
	v_add_f32_e32 v12, v21, v12
	v_add_f32_e32 v13, v15, v25
	v_sub_f32_e32 v14, v16, v29
	v_lshlrev_b32_e32 v1, 3, v1
	v_sub_f32_e32 v15, v15, v25
	v_add_f32_e32 v16, v29, v16
	s_barrier
	ds_write_b64 v17, v[3:4]
	ds_write2_b64 v17, v[13:14], v[9:10] offset0:1 offset1:2
	ds_write2_b64 v17, v[5:6], v[7:8] offset0:3 offset1:4
	;; [unrolled: 1-line block ×3, first 2 shown]
	s_waitcnt lgkmcnt(0)
	s_barrier
	global_load_dwordx4 v[3:6], v1, s[8:9]
	global_load_dwordx4 v[7:10], v1, s[8:9] offset:16
	global_load_dwordx4 v[11:14], v1, s[8:9] offset:32
	ds_read2_b64 v[15:18], v31 offset0:7 offset1:14
	ds_read2_b64 v[19:22], v31 offset0:21 offset1:28
	s_waitcnt vmcnt(2) lgkmcnt(1)
	v_mul_f32_e32 v1, v4, v16
	v_mul_f32_e32 v4, v4, v15
	v_fmac_f32_e32 v1, v3, v15
	v_fma_f32 v15, v3, v16, -v4
	v_mul_f32_e32 v16, v6, v18
	v_mul_f32_e32 v3, v6, v17
	v_fmac_f32_e32 v16, v5, v17
	v_fma_f32 v17, v5, v18, -v3
	s_waitcnt vmcnt(1) lgkmcnt(0)
	v_mul_f32_e32 v18, v8, v20
	v_mul_f32_e32 v3, v8, v19
	v_fmac_f32_e32 v18, v7, v19
	v_fma_f32 v7, v7, v20, -v3
	ds_read2_b64 v[3:6], v31 offset0:35 offset1:42
	v_mul_f32_e32 v8, v10, v22
	v_mul_f32_e32 v10, v10, v21
	v_fmac_f32_e32 v8, v9, v21
	v_fma_f32 v9, v9, v22, -v10
	s_waitcnt vmcnt(0) lgkmcnt(0)
	v_mul_f32_e32 v10, v12, v4
	v_fmac_f32_e32 v10, v11, v3
	v_mul_f32_e32 v3, v12, v3
	v_mul_f32_e32 v12, v14, v6
	v_fma_f32 v11, v11, v4, -v3
	v_fmac_f32_e32 v12, v13, v5
	v_mul_f32_e32 v3, v14, v5
	v_fma_f32 v5, v13, v6, -v3
	v_add_f32_e32 v6, v1, v12
	v_add_f32_e32 v13, v16, v10
	;; [unrolled: 1-line block ×5, first 2 shown]
	ds_read_b64 v[3:4], v23
	v_add_f32_e32 v20, v15, v5
	v_add_f32_e32 v21, v17, v11
	v_sub_f32_e32 v10, v16, v10
	v_sub_f32_e32 v8, v8, v18
	v_add_f32_e32 v22, v7, v9
	v_add_f32_e32 v23, v21, v20
	v_sub_f32_e32 v1, v1, v12
	v_sub_f32_e32 v11, v17, v11
	;; [unrolled: 1-line block ×6, first 2 shown]
	v_add_f32_e32 v16, v8, v10
	v_add_f32_e32 v23, v22, v23
	s_waitcnt lgkmcnt(0)
	v_add_f32_e32 v3, v19, v3
	v_sub_f32_e32 v5, v15, v5
	v_sub_f32_e32 v13, v21, v20
	;; [unrolled: 1-line block ×7, first 2 shown]
	v_add_f32_e32 v1, v16, v1
	v_add_f32_e32 v16, v7, v11
	v_mul_f32_e32 v6, 0x3f4a47b2, v6
	v_mul_f32_e32 v20, 0x3d64c772, v12
	v_add_f32_e32 v4, v23, v4
	v_sub_f32_e32 v18, v7, v11
	v_sub_f32_e32 v7, v5, v7
	;; [unrolled: 1-line block ×3, first 2 shown]
	v_add_f32_e32 v5, v16, v5
	v_mov_b32_e32 v16, v3
	v_fma_f32 v20, v9, s12, -v20
	v_fma_f32 v9, v9, s14, -v6
	v_fmac_f32_e32 v6, 0x3d64c772, v12
	v_mul_f32_e32 v12, 0x3f4a47b2, v14
	v_mul_f32_e32 v14, 0x3d64c772, v15
	v_fmac_f32_e32 v16, 0xbf955555, v19
	v_mov_b32_e32 v19, v4
	v_fma_f32 v14, v13, s12, -v14
	v_fma_f32 v13, v13, s14, -v12
	v_fmac_f32_e32 v12, 0x3d64c772, v15
	v_mul_f32_e32 v17, 0x3f08b237, v17
	v_mul_f32_e32 v15, 0xbf5ff5aa, v10
	;; [unrolled: 1-line block ×3, first 2 shown]
	v_fmac_f32_e32 v19, 0xbf955555, v23
	v_fma_f32 v10, v10, s10, -v17
	v_fmac_f32_e32 v17, 0xbeae86e6, v8
	v_fma_f32 v15, v8, s13, -v15
	v_mul_f32_e32 v8, 0xbf5ff5aa, v11
	v_fma_f32 v11, v11, s10, -v18
	v_fmac_f32_e32 v18, 0xbeae86e6, v7
	v_fma_f32 v21, v7, s13, -v8
	v_add_f32_e32 v22, v6, v16
	v_add_f32_e32 v7, v20, v16
	;; [unrolled: 1-line block ×3, first 2 shown]
	v_fmac_f32_e32 v17, 0xbee1c552, v1
	v_fmac_f32_e32 v18, 0xbee1c552, v5
	v_add_f32_e32 v8, v14, v19
	v_add_f32_e32 v12, v13, v19
	v_fmac_f32_e32 v10, 0xbee1c552, v1
	v_fmac_f32_e32 v15, 0xbee1c552, v1
	v_add_f32_e32 v13, v18, v22
	v_sub_f32_e32 v14, v20, v17
	v_mul_u32_u24_e32 v1, 0x925, v0
	s_barrier
	ds_write2_b64 v31, v[3:4], v[13:14] offset1:7
	v_lshrrev_b32_e32 v13, 16, v1
	v_mul_lo_u16_e32 v1, 28, v13
	v_sub_u16_e32 v14, v0, v1
	v_mad_u64_u32 v[3:4], s[8:9], s0, v14, 0
	s_mul_i32 s10, s24, s3
	v_add_f32_e32 v16, v9, v16
	v_mov_b32_e32 v0, v4
	v_mad_u64_u32 v[0:1], s[0:1], s1, v14, v[0:1]
	s_lshl_b64 s[0:1], s[6:7], 3
	s_add_u32 s3, s18, s0
	s_addc_u32 s6, s19, s1
	s_lshl_b64 s[0:1], s[4:5], 3
	v_fmac_f32_e32 v11, 0xbee1c552, v5
	v_fmac_f32_e32 v21, 0xbee1c552, v5
	s_add_u32 s3, s3, s0
	v_sub_f32_e32 v5, v7, v11
	v_add_f32_e32 v6, v10, v8
	v_add_f32_e32 v7, v11, v7
	v_sub_f32_e32 v8, v8, v10
	v_add_f32_e32 v9, v21, v16
	v_sub_f32_e32 v10, v12, v15
	v_mov_b32_e32 v4, v0
	v_mul_lo_u32 v1, s2, v13
	v_mul_lo_u16_e32 v0, 49, v14
	s_addc_u32 s4, s6, s1
	s_lshl_b64 s[0:1], s[10:11], 3
	v_sub_f32_e32 v11, v16, v21
	v_add_f32_e32 v12, v15, v12
	v_sub_f32_e32 v15, v22, v18
	v_add_f32_e32 v16, v17, v20
	ds_write2_b64 v31, v[9:10], v[5:6] offset0:14 offset1:21
	ds_write2_b64 v31, v[7:8], v[11:12] offset0:28 offset1:35
	ds_write_b64 v31, v[15:16] offset:336
	v_lshlrev_b32_e32 v0, 3, v0
	v_lshlrev_b32_e32 v7, 3, v13
	s_add_u32 s0, s3, s0
	v_lshlrev_b64 v[3:4], 3, v[3:4]
	v_add3_u32 v5, 0, v0, v7
	s_addc_u32 s1, s4, s1
	s_waitcnt lgkmcnt(0)
	s_barrier
	ds_read_b64 v[5:6], v5
	v_mov_b32_e32 v8, s1
	v_add_co_u32_e32 v9, vcc, s0, v3
	v_addc_co_u32_e32 v10, vcc, v8, v4, vcc
	v_lshlrev_b64 v[3:4], 3, v[1:2]
	s_mul_i32 s0, s2, 7
	v_add_co_u32_e32 v3, vcc, v9, v3
	v_addc_co_u32_e32 v4, vcc, v10, v4, vcc
	v_add3_u32 v0, 0, v7, v0
	s_waitcnt lgkmcnt(0)
	global_store_dwordx2 v[3:4], v[5:6], off
	v_add_u32_e32 v1, s0, v1
	ds_read2_b64 v[3:6], v0 offset0:7 offset1:14
	v_lshlrev_b64 v[7:8], 3, v[1:2]
	v_add_u32_e32 v1, s0, v1
	v_add_co_u32_e32 v7, vcc, v9, v7
	v_addc_co_u32_e32 v8, vcc, v10, v8, vcc
	s_waitcnt lgkmcnt(0)
	global_store_dwordx2 v[7:8], v[3:4], off
	v_lshlrev_b64 v[3:4], 3, v[1:2]
	v_add_u32_e32 v1, s0, v1
	v_add_co_u32_e32 v3, vcc, v9, v3
	v_addc_co_u32_e32 v4, vcc, v10, v4, vcc
	global_store_dwordx2 v[3:4], v[5:6], off
	ds_read2_b64 v[3:6], v0 offset0:21 offset1:28
	v_lshlrev_b64 v[7:8], 3, v[1:2]
	v_add_u32_e32 v1, s0, v1
	v_add_co_u32_e32 v7, vcc, v9, v7
	v_addc_co_u32_e32 v8, vcc, v10, v8, vcc
	s_waitcnt lgkmcnt(0)
	global_store_dwordx2 v[7:8], v[3:4], off
	v_lshlrev_b64 v[3:4], 3, v[1:2]
	v_add_u32_e32 v1, s0, v1
	v_add_co_u32_e32 v3, vcc, v9, v3
	v_addc_co_u32_e32 v4, vcc, v10, v4, vcc
	v_lshlrev_b64 v[7:8], 3, v[1:2]
	global_store_dwordx2 v[3:4], v[5:6], off
	ds_read2_b64 v[3:6], v0 offset0:35 offset1:42
	v_add_u32_e32 v1, s0, v1
	v_add_co_u32_e32 v7, vcc, v9, v7
	v_lshlrev_b64 v[0:1], 3, v[1:2]
	v_addc_co_u32_e32 v8, vcc, v10, v8, vcc
	v_add_co_u32_e32 v0, vcc, v9, v0
	v_addc_co_u32_e32 v1, vcc, v10, v1, vcc
	s_waitcnt lgkmcnt(0)
	global_store_dwordx2 v[7:8], v[3:4], off
	global_store_dwordx2 v[0:1], v[5:6], off
	s_endpgm
	.section	.rodata,"a",@progbits
	.p2align	6, 0x0
	.amdhsa_kernel fft_rtc_back_len49_factors_7_7_wgs_196_tpt_7_sp_op_CI_CI_sbrc_xy_z_diag
		.amdhsa_group_segment_fixed_size 0
		.amdhsa_private_segment_fixed_size 0
		.amdhsa_kernarg_size 104
		.amdhsa_user_sgpr_count 6
		.amdhsa_user_sgpr_private_segment_buffer 1
		.amdhsa_user_sgpr_dispatch_ptr 0
		.amdhsa_user_sgpr_queue_ptr 0
		.amdhsa_user_sgpr_kernarg_segment_ptr 1
		.amdhsa_user_sgpr_dispatch_id 0
		.amdhsa_user_sgpr_flat_scratch_init 0
		.amdhsa_user_sgpr_private_segment_size 0
		.amdhsa_uses_dynamic_stack 0
		.amdhsa_system_sgpr_private_segment_wavefront_offset 0
		.amdhsa_system_sgpr_workgroup_id_x 1
		.amdhsa_system_sgpr_workgroup_id_y 0
		.amdhsa_system_sgpr_workgroup_id_z 0
		.amdhsa_system_sgpr_workgroup_info 0
		.amdhsa_system_vgpr_workitem_id 0
		.amdhsa_next_free_vgpr 33
		.amdhsa_next_free_sgpr 30
		.amdhsa_reserve_vcc 1
		.amdhsa_reserve_flat_scratch 0
		.amdhsa_float_round_mode_32 0
		.amdhsa_float_round_mode_16_64 0
		.amdhsa_float_denorm_mode_32 3
		.amdhsa_float_denorm_mode_16_64 3
		.amdhsa_dx10_clamp 1
		.amdhsa_ieee_mode 1
		.amdhsa_fp16_overflow 0
		.amdhsa_exception_fp_ieee_invalid_op 0
		.amdhsa_exception_fp_denorm_src 0
		.amdhsa_exception_fp_ieee_div_zero 0
		.amdhsa_exception_fp_ieee_overflow 0
		.amdhsa_exception_fp_ieee_underflow 0
		.amdhsa_exception_fp_ieee_inexact 0
		.amdhsa_exception_int_div_zero 0
	.end_amdhsa_kernel
	.text
.Lfunc_end0:
	.size	fft_rtc_back_len49_factors_7_7_wgs_196_tpt_7_sp_op_CI_CI_sbrc_xy_z_diag, .Lfunc_end0-fft_rtc_back_len49_factors_7_7_wgs_196_tpt_7_sp_op_CI_CI_sbrc_xy_z_diag
                                        ; -- End function
	.section	.AMDGPU.csdata,"",@progbits
; Kernel info:
; codeLenInByte = 2476
; NumSgprs: 34
; NumVgprs: 33
; ScratchSize: 0
; MemoryBound: 0
; FloatMode: 240
; IeeeMode: 1
; LDSByteSize: 0 bytes/workgroup (compile time only)
; SGPRBlocks: 4
; VGPRBlocks: 8
; NumSGPRsForWavesPerEU: 34
; NumVGPRsForWavesPerEU: 33
; Occupancy: 7
; WaveLimiterHint : 1
; COMPUTE_PGM_RSRC2:SCRATCH_EN: 0
; COMPUTE_PGM_RSRC2:USER_SGPR: 6
; COMPUTE_PGM_RSRC2:TRAP_HANDLER: 0
; COMPUTE_PGM_RSRC2:TGID_X_EN: 1
; COMPUTE_PGM_RSRC2:TGID_Y_EN: 0
; COMPUTE_PGM_RSRC2:TGID_Z_EN: 0
; COMPUTE_PGM_RSRC2:TIDIG_COMP_CNT: 0
	.type	__hip_cuid_4a6296e43eb4a1af,@object ; @__hip_cuid_4a6296e43eb4a1af
	.section	.bss,"aw",@nobits
	.globl	__hip_cuid_4a6296e43eb4a1af
__hip_cuid_4a6296e43eb4a1af:
	.byte	0                               ; 0x0
	.size	__hip_cuid_4a6296e43eb4a1af, 1

	.ident	"AMD clang version 19.0.0git (https://github.com/RadeonOpenCompute/llvm-project roc-6.4.0 25133 c7fe45cf4b819c5991fe208aaa96edf142730f1d)"
	.section	".note.GNU-stack","",@progbits
	.addrsig
	.addrsig_sym __hip_cuid_4a6296e43eb4a1af
	.amdgpu_metadata
---
amdhsa.kernels:
  - .args:
      - .actual_access:  read_only
        .address_space:  global
        .offset:         0
        .size:           8
        .value_kind:     global_buffer
      - .offset:         8
        .size:           8
        .value_kind:     by_value
      - .actual_access:  read_only
        .address_space:  global
        .offset:         16
        .size:           8
        .value_kind:     global_buffer
      - .actual_access:  read_only
        .address_space:  global
        .offset:         24
        .size:           8
        .value_kind:     global_buffer
      - .actual_access:  read_only
        .address_space:  global
        .offset:         32
        .size:           8
        .value_kind:     global_buffer
      - .offset:         40
        .size:           8
        .value_kind:     by_value
      - .actual_access:  read_only
        .address_space:  global
        .offset:         48
        .size:           8
        .value_kind:     global_buffer
      - .actual_access:  read_only
        .address_space:  global
        .offset:         56
        .size:           8
        .value_kind:     global_buffer
      - .offset:         64
        .size:           4
        .value_kind:     by_value
      - .actual_access:  read_only
        .address_space:  global
        .offset:         72
        .size:           8
        .value_kind:     global_buffer
      - .actual_access:  read_only
        .address_space:  global
        .offset:         80
        .size:           8
        .value_kind:     global_buffer
      - .actual_access:  read_only
        .address_space:  global
        .offset:         88
        .size:           8
        .value_kind:     global_buffer
      - .actual_access:  write_only
        .address_space:  global
        .offset:         96
        .size:           8
        .value_kind:     global_buffer
    .group_segment_fixed_size: 0
    .kernarg_segment_align: 8
    .kernarg_segment_size: 104
    .language:       OpenCL C
    .language_version:
      - 2
      - 0
    .max_flat_workgroup_size: 196
    .name:           fft_rtc_back_len49_factors_7_7_wgs_196_tpt_7_sp_op_CI_CI_sbrc_xy_z_diag
    .private_segment_fixed_size: 0
    .sgpr_count:     34
    .sgpr_spill_count: 0
    .symbol:         fft_rtc_back_len49_factors_7_7_wgs_196_tpt_7_sp_op_CI_CI_sbrc_xy_z_diag.kd
    .uniform_work_group_size: 1
    .uses_dynamic_stack: false
    .vgpr_count:     33
    .vgpr_spill_count: 0
    .wavefront_size: 64
amdhsa.target:   amdgcn-amd-amdhsa--gfx906
amdhsa.version:
  - 1
  - 2
...

	.end_amdgpu_metadata
